;; amdgpu-corpus repo=ROCm/rocFFT kind=compiled arch=gfx1030 opt=O3
	.text
	.amdgcn_target "amdgcn-amd-amdhsa--gfx1030"
	.amdhsa_code_object_version 6
	.protected	bluestein_single_back_len216_dim1_dp_op_CI_CI ; -- Begin function bluestein_single_back_len216_dim1_dp_op_CI_CI
	.globl	bluestein_single_back_len216_dim1_dp_op_CI_CI
	.p2align	8
	.type	bluestein_single_back_len216_dim1_dp_op_CI_CI,@function
bluestein_single_back_len216_dim1_dp_op_CI_CI: ; @bluestein_single_back_len216_dim1_dp_op_CI_CI
; %bb.0:
	s_load_dwordx4 s[12:15], s[4:5], 0x28
	v_mul_u32_u24_e32 v1, 0x71d, v0
	s_mov_b32 s0, exec_lo
	v_lshrrev_b32_e32 v1, 16, v1
	v_mad_u64_u32 v[64:65], null, s6, 7, v[1:2]
	v_mov_b32_e32 v65, 0
	s_waitcnt lgkmcnt(0)
	v_cmpx_gt_u64_e64 s[12:13], v[64:65]
	s_cbranch_execz .LBB0_2
; %bb.1:
	s_clause 0x1
	s_load_dwordx4 s[0:3], s[4:5], 0x18
	s_load_dwordx4 s[8:11], s[4:5], 0x0
	v_mul_lo_u16 v1, v1, 36
	v_mul_hi_u32 v49, 0x24924925, v64
	v_sub_nc_u16 v24, v0, v1
	v_sub_nc_u32_e32 v50, v64, v49
	v_and_b32_e32 v67, 0xffff, v24
	v_lshrrev_b32_e32 v50, 1, v50
	v_lshlrev_b32_e32 v63, 4, v67
	s_waitcnt lgkmcnt(0)
	s_load_dwordx4 s[16:19], s[0:1], 0x0
	v_add_nc_u32_e32 v49, v50, v49
	v_lshrrev_b32_e32 v68, 2, v49
	v_mul_lo_u32 v68, v68, 7
	v_sub_nc_u32_e32 v68, v64, v68
	s_waitcnt lgkmcnt(0)
	v_mad_u64_u32 v[8:9], null, s18, v64, 0
	v_mad_u64_u32 v[16:17], null, s16, v67, 0
	s_mul_i32 s0, s17, 0x240
	s_mul_hi_u32 s1, s16, 0x240
	s_mul_i32 s6, s16, 0x240
	s_add_i32 s1, s1, s0
	v_mov_b32_e32 v0, v9
	v_add_co_u32 v69, s0, s8, v63
	v_mov_b32_e32 v1, v17
	v_add_co_ci_u32_e64 v70, null, s9, 0, s0
	v_mad_u64_u32 v[2:3], null, s19, v64, v[0:1]
	v_mad_u64_u32 v[10:11], null, s17, v67, v[1:2]
	v_mov_b32_e32 v9, v2
	s_clause 0x1
	global_load_dwordx4 v[4:7], v63, s[8:9]
	global_load_dwordx4 v[0:3], v63, s[8:9] offset:576
	v_lshlrev_b64 v[18:19], 4, v[8:9]
	v_mov_b32_e32 v17, v10
	s_clause 0x1
	global_load_dwordx4 v[12:15], v63, s[8:9] offset:1152
	global_load_dwordx4 v[8:11], v63, s[8:9] offset:1728
	s_mov_b32 s9, 0xbfebb67a
	v_lshlrev_b64 v[16:17], 4, v[16:17]
	v_add_co_u32 v18, vcc_lo, s14, v18
	v_add_co_ci_u32_e32 v19, vcc_lo, s15, v19, vcc_lo
	v_add_co_u32 v16, vcc_lo, v18, v16
	v_add_co_ci_u32_e32 v17, vcc_lo, v19, v17, vcc_lo
	;; [unrolled: 2-line block ×3, first 2 shown]
	global_load_dwordx4 v[25:28], v[16:17], off
	v_add_co_u32 v20, vcc_lo, v18, s6
	v_add_co_ci_u32_e32 v21, vcc_lo, s1, v19, vcc_lo
	v_add_co_u32 v65, vcc_lo, 0x800, v69
	v_add_co_ci_u32_e32 v66, vcc_lo, 0, v70, vcc_lo
	;; [unrolled: 2-line block ×3, first 2 shown]
	s_clause 0x1
	global_load_dwordx4 v[29:32], v[18:19], off
	global_load_dwordx4 v[33:36], v[20:21], off
	v_add_co_u32 v16, vcc_lo, v22, s6
	v_add_co_ci_u32_e32 v17, vcc_lo, s1, v23, vcc_lo
	v_add_co_u32 v45, vcc_lo, v16, s6
	v_add_co_ci_u32_e32 v46, vcc_lo, s1, v17, vcc_lo
	s_clause 0x1
	global_load_dwordx4 v[37:40], v[22:23], off
	global_load_dwordx4 v[41:44], v[16:17], off
	s_clause 0x1
	global_load_dwordx4 v[16:19], v[65:66], off offset:256
	global_load_dwordx4 v[20:23], v[65:66], off offset:832
	global_load_dwordx4 v[45:48], v[45:46], off
	s_load_dwordx4 s[0:3], s[2:3], 0x0
	s_mov_b32 s6, 0xe8584caa
	s_mov_b32 s7, 0x3febb67a
	;; [unrolled: 1-line block ×3, first 2 shown]
	s_waitcnt vmcnt(7)
	v_mul_f64 v[49:50], v[27:28], v[6:7]
	v_mul_f64 v[51:52], v[25:26], v[6:7]
	s_waitcnt vmcnt(6)
	v_mul_f64 v[53:54], v[31:32], v[2:3]
	v_mul_f64 v[55:56], v[29:30], v[2:3]
	s_waitcnt vmcnt(5)
	v_mul_f64 v[57:58], v[35:36], v[14:15]
	v_mul_f64 v[59:60], v[33:34], v[14:15]
	s_waitcnt vmcnt(4)
	v_mul_f64 v[61:62], v[39:40], v[10:11]
	v_mul_f64 v[71:72], v[37:38], v[10:11]
	s_waitcnt vmcnt(2)
	v_mul_f64 v[73:74], v[43:44], v[18:19]
	v_mul_f64 v[75:76], v[41:42], v[18:19]
	s_waitcnt vmcnt(0)
	v_mul_f64 v[77:78], v[47:48], v[22:23]
	v_mul_f64 v[79:80], v[45:46], v[22:23]
	v_fma_f64 v[25:26], v[25:26], v[4:5], v[49:50]
	v_fma_f64 v[27:28], v[27:28], v[4:5], -v[51:52]
	v_fma_f64 v[29:30], v[29:30], v[0:1], v[53:54]
	v_fma_f64 v[31:32], v[31:32], v[0:1], -v[55:56]
	v_fma_f64 v[33:34], v[33:34], v[12:13], v[57:58]
	v_fma_f64 v[35:36], v[35:36], v[12:13], -v[59:60]
	v_fma_f64 v[37:38], v[37:38], v[8:9], v[61:62]
	v_fma_f64 v[39:40], v[39:40], v[8:9], -v[71:72]
	v_fma_f64 v[49:50], v[41:42], v[16:17], v[73:74]
	v_fma_f64 v[51:52], v[43:44], v[16:17], -v[75:76]
	v_fma_f64 v[45:46], v[45:46], v[20:21], v[77:78]
	v_fma_f64 v[47:48], v[47:48], v[20:21], -v[79:80]
	v_mul_u32_u24_e32 v41, 0xd8, v68
	v_and_b32_e32 v43, 0xff, v24
	v_lshlrev_b32_e32 v44, 4, v41
	v_add_nc_u32_e32 v68, v63, v44
	ds_write_b128 v68, v[25:28]
	ds_write_b128 v68, v[29:32] offset:576
	ds_write_b128 v68, v[33:36] offset:1152
	;; [unrolled: 1-line block ×5, first 2 shown]
	s_waitcnt lgkmcnt(0)
	s_barrier
	buffer_gl0_inv
	ds_read_b128 v[25:28], v68 offset:2880
	ds_read_b128 v[29:32], v68 offset:1728
	;; [unrolled: 1-line block ×5, first 2 shown]
	ds_read_b128 v[49:52], v68
	s_waitcnt lgkmcnt(0)
	s_barrier
	buffer_gl0_inv
	v_add_f64 v[41:42], v[31:32], v[27:28]
	v_add_f64 v[53:54], v[29:30], v[25:26]
	v_add_f64 v[55:56], v[31:32], -v[27:28]
	v_add_f64 v[57:58], v[29:30], -v[25:26]
	v_add_f64 v[59:60], v[33:34], v[37:38]
	v_add_f64 v[61:62], v[35:36], v[39:40]
	;; [unrolled: 1-line block ×4, first 2 shown]
	v_fma_f64 v[41:42], v[41:42], -0.5, v[47:48]
	v_fma_f64 v[53:54], v[53:54], -0.5, v[45:46]
	;; [unrolled: 1-line block ×4, first 2 shown]
	v_add_f64 v[29:30], v[29:30], v[25:26]
	v_add_f64 v[31:32], v[31:32], v[27:28]
	v_mul_lo_u16 v25, 0xab, v43
	v_lshrrev_b16 v63, 10, v25
	v_mul_lo_u16 v43, v63, 6
	v_fma_f64 v[71:72], v[57:58], s[8:9], v[41:42]
	v_fma_f64 v[73:74], v[55:56], s[8:9], v[53:54]
	;; [unrolled: 1-line block ×4, first 2 shown]
	v_add_f64 v[55:56], v[49:50], v[33:34]
	v_add_f64 v[57:58], v[35:36], -v[39:40]
	v_add_f64 v[35:36], v[51:52], v[35:36]
	v_add_f64 v[33:34], v[33:34], -v[37:38]
	v_mul_f64 v[49:50], v[71:72], s[6:7]
	v_mul_f64 v[51:52], v[73:74], -0.5
	v_mul_f64 v[59:60], v[53:54], s[8:9]
	v_mul_f64 v[61:62], v[41:42], -0.5
	v_add_f64 v[37:38], v[55:56], v[37:38]
	v_fma_f64 v[55:56], v[57:58], s[6:7], v[45:46]
	v_add_f64 v[35:36], v[35:36], v[39:40]
	v_fma_f64 v[57:58], v[57:58], s[8:9], v[45:46]
	v_fma_f64 v[75:76], v[33:34], s[8:9], v[47:48]
	;; [unrolled: 1-line block ×3, first 2 shown]
	v_fma_f64 v[45:46], v[53:54], 0.5, v[49:50]
	v_fma_f64 v[41:42], v[41:42], s[6:7], v[51:52]
	v_fma_f64 v[47:48], v[71:72], 0.5, v[59:60]
	v_fma_f64 v[51:52], v[73:74], s[8:9], v[61:62]
	v_add_f64 v[25:26], v[37:38], v[29:30]
	v_add_f64 v[29:30], v[37:38], -v[29:30]
	v_add_f64 v[27:28], v[35:36], v[31:32]
	v_add_f64 v[31:32], v[35:36], -v[31:32]
	v_add_f64 v[33:34], v[55:56], v[45:46]
	v_add_f64 v[37:38], v[57:58], v[41:42]
	;; [unrolled: 1-line block ×4, first 2 shown]
	v_add_f64 v[45:46], v[55:56], -v[45:46]
	v_add_f64 v[49:50], v[57:58], -v[41:42]
	;; [unrolled: 1-line block ×3, first 2 shown]
	v_mul_lo_u16 v41, v24, 6
	v_sub_nc_u16 v24, v24, v43
	v_add_f64 v[51:52], v[77:78], -v[51:52]
	v_and_b32_e32 v41, 0xffff, v41
	v_and_b32_e32 v94, 0xff, v24
	v_lshl_add_u32 v71, v41, 4, v44
	v_mad_u64_u32 v[53:54], null, 0x50, v94, s[10:11]
	ds_write_b128 v71, v[25:28]
	ds_write_b128 v71, v[29:32] offset:48
	ds_write_b128 v71, v[33:36] offset:16
	;; [unrolled: 1-line block ×5, first 2 shown]
	s_waitcnt lgkmcnt(0)
	s_barrier
	buffer_gl0_inv
	s_clause 0x4
	global_load_dwordx4 v[24:27], v[53:54], off offset:32
	global_load_dwordx4 v[40:43], v[53:54], off offset:64
	global_load_dwordx4 v[28:31], v[53:54], off
	global_load_dwordx4 v[36:39], v[53:54], off offset:16
	global_load_dwordx4 v[32:35], v[53:54], off offset:48
	ds_read_b128 v[45:48], v68 offset:1728
	ds_read_b128 v[49:52], v68 offset:2880
	;; [unrolled: 1-line block ×5, first 2 shown]
	ds_read_b128 v[76:79], v68
	s_waitcnt vmcnt(0) lgkmcnt(0)
	s_barrier
	buffer_gl0_inv
	v_mul_f64 v[61:62], v[47:48], v[26:27]
	v_mul_f64 v[80:81], v[45:46], v[26:27]
	;; [unrolled: 1-line block ×6, first 2 shown]
	v_fma_f64 v[45:46], v[45:46], v[24:25], -v[61:62]
	v_fma_f64 v[47:48], v[47:48], v[24:25], v[80:81]
	v_fma_f64 v[51:52], v[51:52], v[40:41], v[82:83]
	v_fma_f64 v[49:50], v[49:50], v[40:41], -v[84:85]
	v_mul_f64 v[61:62], v[55:56], v[38:39]
	v_mul_f64 v[80:81], v[53:54], v[38:39]
	;; [unrolled: 1-line block ×4, first 2 shown]
	v_fma_f64 v[57:58], v[57:58], v[28:29], -v[86:87]
	v_fma_f64 v[59:60], v[59:60], v[28:29], v[88:89]
	v_add_f64 v[86:87], v[47:48], v[51:52]
	v_add_f64 v[88:89], v[45:46], v[49:50]
	v_fma_f64 v[53:54], v[53:54], v[36:37], -v[61:62]
	v_fma_f64 v[55:56], v[55:56], v[36:37], v[80:81]
	v_fma_f64 v[61:62], v[72:73], v[32:33], -v[82:83]
	v_fma_f64 v[72:73], v[74:75], v[32:33], v[84:85]
	v_add_f64 v[74:75], v[45:46], -v[49:50]
	v_add_f64 v[80:81], v[47:48], -v[51:52]
	v_add_f64 v[45:46], v[57:58], v[45:46]
	v_add_f64 v[47:48], v[59:60], v[47:48]
	v_fma_f64 v[82:83], v[86:87], -0.5, v[59:60]
	v_fma_f64 v[84:85], v[88:89], -0.5, v[57:58]
	v_add_f64 v[86:87], v[53:54], v[61:62]
	v_add_f64 v[88:89], v[55:56], v[72:73]
	;; [unrolled: 1-line block ×4, first 2 shown]
	v_fma_f64 v[90:91], v[74:75], s[8:9], v[82:83]
	v_fma_f64 v[92:93], v[80:81], s[6:7], v[84:85]
	;; [unrolled: 1-line block ×4, first 2 shown]
	v_add_f64 v[82:83], v[76:77], v[53:54]
	v_add_f64 v[84:85], v[78:79], v[55:56]
	v_add_f64 v[53:54], v[53:54], -v[61:62]
	v_add_f64 v[55:56], v[55:56], -v[72:73]
	v_fma_f64 v[57:58], v[86:87], -0.5, v[76:77]
	v_fma_f64 v[59:60], v[88:89], -0.5, v[78:79]
	v_mul_f64 v[76:77], v[90:91], s[6:7]
	v_mul_f64 v[78:79], v[92:93], s[8:9]
	v_mul_f64 v[86:87], v[80:81], -0.5
	v_mul_f64 v[88:89], v[74:75], -0.5
	v_add_f64 v[61:62], v[82:83], v[61:62]
	v_add_f64 v[72:73], v[84:85], v[72:73]
	v_fma_f64 v[82:83], v[55:56], s[6:7], v[57:58]
	v_fma_f64 v[84:85], v[53:54], s[8:9], v[59:60]
	v_fma_f64 v[76:77], v[92:93], 0.5, v[76:77]
	v_fma_f64 v[78:79], v[90:91], 0.5, v[78:79]
	v_fma_f64 v[90:91], v[55:56], s[8:9], v[57:58]
	v_fma_f64 v[92:93], v[53:54], s[6:7], v[59:60]
	;; [unrolled: 1-line block ×4, first 2 shown]
	v_add_f64 v[45:46], v[61:62], v[49:50]
	v_add_f64 v[47:48], v[72:73], v[51:52]
	v_add_f64 v[49:50], v[61:62], -v[49:50]
	v_add_f64 v[51:52], v[72:73], -v[51:52]
	v_mov_b32_e32 v88, 36
	v_mul_u32_u24_sdwa v61, v63, v88 dst_sel:DWORD dst_unused:UNUSED_PAD src0_sel:WORD_0 src1_sel:DWORD
	v_add_nc_u32_e32 v61, v61, v94
	v_add_f64 v[53:54], v[82:83], v[76:77]
	v_add_f64 v[55:56], v[84:85], v[78:79]
	v_add_f64 v[57:58], v[82:83], -v[76:77]
	v_add_f64 v[59:60], v[84:85], -v[78:79]
	v_add_f64 v[73:74], v[90:91], v[86:87]
	v_add_f64 v[75:76], v[92:93], v[80:81]
	v_add_f64 v[77:78], v[90:91], -v[86:87]
	v_add_f64 v[79:80], v[92:93], -v[80:81]
	v_mad_u64_u32 v[81:82], null, 0x50, v67, s[10:11]
	v_lshl_add_u32 v72, v61, 4, v44
	ds_write_b128 v72, v[45:48]
	ds_write_b128 v72, v[49:52] offset:288
	ds_write_b128 v72, v[53:56] offset:96
	;; [unrolled: 1-line block ×5, first 2 shown]
	s_waitcnt lgkmcnt(0)
	s_barrier
	buffer_gl0_inv
	s_clause 0x4
	global_load_dwordx4 v[44:47], v[81:82], off offset:496
	global_load_dwordx4 v[48:51], v[81:82], off offset:512
	;; [unrolled: 1-line block ×5, first 2 shown]
	ds_read_b128 v[73:76], v68 offset:1152
	ds_read_b128 v[77:80], v68 offset:1728
	ds_read_b128 v[81:84], v68 offset:2880
	ds_read_b128 v[85:88], v68 offset:2304
	ds_read_b128 v[89:92], v68 offset:576
	ds_read_b128 v[93:96], v68
	s_waitcnt vmcnt(4) lgkmcnt(5)
	v_mul_f64 v[97:98], v[75:76], v[46:47]
	v_mul_f64 v[99:100], v[73:74], v[46:47]
	s_waitcnt vmcnt(3) lgkmcnt(4)
	v_mul_f64 v[101:102], v[79:80], v[50:51]
	v_mul_f64 v[103:104], v[77:78], v[50:51]
	s_waitcnt vmcnt(2) lgkmcnt(3)
	v_mul_f64 v[105:106], v[83:84], v[62:63]
	v_fma_f64 v[73:74], v[73:74], v[44:45], -v[97:98]
	v_fma_f64 v[75:76], v[75:76], v[44:45], v[99:100]
	s_waitcnt vmcnt(1) lgkmcnt(2)
	v_mul_f64 v[97:98], v[87:88], v[54:55]
	v_mul_f64 v[99:100], v[85:86], v[54:55]
	v_fma_f64 v[77:78], v[77:78], v[48:49], -v[101:102]
	v_fma_f64 v[79:80], v[79:80], v[48:49], v[103:104]
	s_waitcnt vmcnt(0) lgkmcnt(1)
	v_mul_f64 v[101:102], v[91:92], v[58:59]
	v_mul_f64 v[103:104], v[81:82], v[62:63]
	v_fma_f64 v[81:82], v[81:82], v[60:61], -v[105:106]
	s_waitcnt lgkmcnt(0)
	v_add_f64 v[105:106], v[93:94], v[73:74]
	v_fma_f64 v[85:86], v[85:86], v[52:53], -v[97:98]
	v_fma_f64 v[87:88], v[87:88], v[52:53], v[99:100]
	v_mul_f64 v[97:98], v[89:90], v[58:59]
	v_fma_f64 v[89:90], v[89:90], v[56:57], -v[101:102]
	v_fma_f64 v[83:84], v[83:84], v[60:61], v[103:104]
	v_add_f64 v[99:100], v[77:78], v[81:82]
	v_add_f64 v[101:102], v[75:76], v[87:88]
	v_fma_f64 v[91:92], v[91:92], v[56:57], v[97:98]
	v_add_f64 v[97:98], v[73:74], v[85:86]
	v_add_f64 v[73:74], v[73:74], -v[85:86]
	v_add_f64 v[103:104], v[79:80], -v[83:84]
	v_fma_f64 v[99:100], v[99:100], -0.5, v[89:90]
	v_add_f64 v[89:90], v[89:90], v[77:78]
	v_add_f64 v[77:78], v[77:78], -v[81:82]
	v_add_f64 v[85:86], v[105:106], v[85:86]
	v_fma_f64 v[93:94], v[97:98], -0.5, v[93:94]
	v_fma_f64 v[97:98], v[101:102], -0.5, v[95:96]
	v_add_f64 v[95:96], v[95:96], v[75:76]
	v_fma_f64 v[101:102], v[103:104], s[6:7], v[99:100]
	v_fma_f64 v[99:100], v[103:104], s[8:9], v[99:100]
	v_add_f64 v[103:104], v[79:80], v[83:84]
	v_add_f64 v[79:80], v[91:92], v[79:80]
	v_add_f64 v[75:76], v[75:76], -v[87:88]
	v_add_f64 v[81:82], v[89:90], v[81:82]
	v_add_f64 v[87:88], v[95:96], v[87:88]
	v_mul_f64 v[89:90], v[99:100], -0.5
	v_fma_f64 v[103:104], v[103:104], -0.5, v[91:92]
	v_add_f64 v[79:80], v[79:80], v[83:84]
	v_fma_f64 v[105:106], v[75:76], s[6:7], v[93:94]
	v_fma_f64 v[93:94], v[75:76], s[8:9], v[93:94]
	v_fma_f64 v[107:108], v[77:78], s[8:9], v[103:104]
	v_fma_f64 v[77:78], v[77:78], s[6:7], v[103:104]
	v_mul_f64 v[103:104], v[101:102], s[8:9]
	v_add_f64 v[75:76], v[87:88], v[79:80]
	v_add_f64 v[79:80], v[87:88], -v[79:80]
	v_mul_f64 v[91:92], v[107:108], s[6:7]
	v_mul_f64 v[95:96], v[77:78], -0.5
	v_fma_f64 v[103:104], v[107:108], 0.5, v[103:104]
	v_fma_f64 v[107:108], v[77:78], s[6:7], v[89:90]
	v_add_f64 v[77:78], v[85:86], -v[81:82]
	v_fma_f64 v[91:92], v[101:102], 0.5, v[91:92]
	v_fma_f64 v[101:102], v[73:74], s[8:9], v[97:98]
	v_fma_f64 v[97:98], v[73:74], s[6:7], v[97:98]
	;; [unrolled: 1-line block ×3, first 2 shown]
	v_add_f64 v[73:74], v[85:86], v[81:82]
	v_add_f64 v[89:90], v[93:94], v[107:108]
	v_add_f64 v[93:94], v[93:94], -v[107:108]
	v_add_f64 v[81:82], v[105:106], v[91:92]
	v_add_f64 v[83:84], v[101:102], v[103:104]
	v_add_f64 v[85:86], v[105:106], -v[91:92]
	v_add_f64 v[91:92], v[97:98], v[95:96]
	v_add_f64 v[87:88], v[101:102], -v[103:104]
	v_add_f64 v[95:96], v[97:98], -v[95:96]
	ds_write_b128 v68, v[73:76]
	ds_write_b128 v68, v[77:80] offset:1728
	ds_write_b128 v68, v[81:84] offset:576
	ds_write_b128 v68, v[89:92] offset:1152
	ds_write_b128 v68, v[85:88] offset:2304
	ds_write_b128 v68, v[93:96] offset:2880
	s_waitcnt lgkmcnt(0)
	s_barrier
	buffer_gl0_inv
	global_load_dwordx4 v[73:76], v[65:66], off offset:1408
	v_add_co_u32 v65, vcc_lo, 0xd80, v69
	v_add_co_ci_u32_e32 v66, vcc_lo, 0, v70, vcc_lo
	s_clause 0x2
	global_load_dwordx4 v[77:80], v[65:66], off offset:576
	global_load_dwordx4 v[81:84], v[65:66], off offset:1152
	;; [unrolled: 1-line block ×3, first 2 shown]
	v_add_co_u32 v65, vcc_lo, 0x1000, v69
	v_add_co_ci_u32_e32 v66, vcc_lo, 0, v70, vcc_lo
	global_load_dwordx4 v[89:92], v[65:66], off offset:1664
	v_add_co_u32 v65, vcc_lo, 0x1800, v69
	v_add_co_ci_u32_e32 v66, vcc_lo, 0, v70, vcc_lo
	global_load_dwordx4 v[93:96], v[65:66], off offset:192
	ds_read_b128 v[97:100], v68
	ds_read_b128 v[101:104], v68 offset:576
	s_waitcnt vmcnt(5) lgkmcnt(1)
	v_mul_f64 v[65:66], v[99:100], v[75:76]
	v_mul_f64 v[69:70], v[97:98], v[75:76]
	v_fma_f64 v[97:98], v[97:98], v[73:74], -v[65:66]
	v_fma_f64 v[99:100], v[99:100], v[73:74], v[69:70]
	s_waitcnt vmcnt(4) lgkmcnt(0)
	v_mul_f64 v[65:66], v[103:104], v[79:80]
	v_mul_f64 v[69:70], v[101:102], v[79:80]
	ds_read_b128 v[73:76], v68 offset:1152
	v_fma_f64 v[101:102], v[101:102], v[77:78], -v[65:66]
	v_fma_f64 v[103:104], v[103:104], v[77:78], v[69:70]
	ds_read_b128 v[77:80], v68 offset:1728
	s_waitcnt vmcnt(3) lgkmcnt(1)
	v_mul_f64 v[65:66], v[75:76], v[83:84]
	v_mul_f64 v[69:70], v[73:74], v[83:84]
	v_fma_f64 v[73:74], v[73:74], v[81:82], -v[65:66]
	v_fma_f64 v[75:76], v[75:76], v[81:82], v[69:70]
	s_waitcnt vmcnt(2) lgkmcnt(0)
	v_mul_f64 v[65:66], v[79:80], v[87:88]
	v_mul_f64 v[69:70], v[77:78], v[87:88]
	ds_read_b128 v[81:84], v68 offset:2304
	v_fma_f64 v[77:78], v[77:78], v[85:86], -v[65:66]
	v_fma_f64 v[79:80], v[79:80], v[85:86], v[69:70]
	ds_read_b128 v[85:88], v68 offset:2880
	s_waitcnt vmcnt(1) lgkmcnt(1)
	v_mul_f64 v[65:66], v[83:84], v[91:92]
	v_mul_f64 v[69:70], v[81:82], v[91:92]
	v_fma_f64 v[81:82], v[81:82], v[89:90], -v[65:66]
	v_fma_f64 v[83:84], v[83:84], v[89:90], v[69:70]
	s_waitcnt vmcnt(0) lgkmcnt(0)
	v_mul_f64 v[65:66], v[87:88], v[95:96]
	v_mul_f64 v[69:70], v[85:86], v[95:96]
	v_fma_f64 v[85:86], v[85:86], v[93:94], -v[65:66]
	v_fma_f64 v[87:88], v[87:88], v[93:94], v[69:70]
	ds_write_b128 v68, v[97:100]
	ds_write_b128 v68, v[101:104] offset:576
	ds_write_b128 v68, v[73:76] offset:1152
	;; [unrolled: 1-line block ×5, first 2 shown]
	s_waitcnt lgkmcnt(0)
	s_barrier
	buffer_gl0_inv
	ds_read_b128 v[73:76], v68 offset:1728
	ds_read_b128 v[77:80], v68 offset:2880
	;; [unrolled: 1-line block ×5, first 2 shown]
	ds_read_b128 v[93:96], v68
	s_waitcnt lgkmcnt(0)
	s_barrier
	buffer_gl0_inv
	v_add_f64 v[65:66], v[75:76], v[79:80]
	v_add_f64 v[69:70], v[73:74], v[77:78]
	v_add_f64 v[97:98], v[73:74], -v[77:78]
	v_add_f64 v[99:100], v[85:86], v[89:90]
	v_add_f64 v[101:102], v[87:88], v[91:92]
	v_add_f64 v[103:104], v[75:76], -v[79:80]
	v_add_f64 v[73:74], v[81:82], v[73:74]
	v_add_f64 v[75:76], v[83:84], v[75:76]
	v_fma_f64 v[65:66], v[65:66], -0.5, v[83:84]
	v_fma_f64 v[69:70], v[69:70], -0.5, v[81:82]
	v_add_f64 v[81:82], v[93:94], v[85:86]
	v_add_f64 v[83:84], v[95:96], v[87:88]
	v_add_f64 v[87:88], v[87:88], -v[91:92]
	v_add_f64 v[85:86], v[85:86], -v[89:90]
	v_fma_f64 v[93:94], v[99:100], -0.5, v[93:94]
	v_fma_f64 v[95:96], v[101:102], -0.5, v[95:96]
	v_add_f64 v[77:78], v[73:74], v[77:78]
	v_add_f64 v[79:80], v[75:76], v[79:80]
	v_fma_f64 v[105:106], v[97:98], s[6:7], v[65:66]
	v_fma_f64 v[65:66], v[97:98], s[8:9], v[65:66]
	;; [unrolled: 1-line block ×4, first 2 shown]
	v_add_f64 v[81:82], v[81:82], v[89:90]
	v_add_f64 v[83:84], v[83:84], v[91:92]
	v_fma_f64 v[89:90], v[87:88], s[8:9], v[93:94]
	v_fma_f64 v[91:92], v[85:86], s[6:7], v[95:96]
	;; [unrolled: 1-line block ×4, first 2 shown]
	v_mul_f64 v[99:100], v[105:106], s[8:9]
	v_mul_f64 v[101:102], v[105:106], 0.5
	v_mul_f64 v[103:104], v[65:66], s[8:9]
	v_mul_f64 v[65:66], v[65:66], -0.5
	v_add_f64 v[73:74], v[81:82], v[77:78]
	v_add_f64 v[75:76], v[83:84], v[79:80]
	v_add_f64 v[77:78], v[81:82], -v[77:78]
	v_add_f64 v[79:80], v[83:84], -v[79:80]
	v_fma_f64 v[99:100], v[97:98], 0.5, v[99:100]
	v_fma_f64 v[97:98], v[97:98], s[6:7], v[101:102]
	v_fma_f64 v[101:102], v[69:70], -0.5, v[103:104]
	v_fma_f64 v[65:66], v[69:70], s[6:7], v[65:66]
	v_add_f64 v[81:82], v[89:90], v[99:100]
	v_add_f64 v[83:84], v[91:92], v[97:98]
	v_add_f64 v[85:86], v[89:90], -v[99:100]
	v_add_f64 v[87:88], v[91:92], -v[97:98]
	v_add_f64 v[89:90], v[93:94], v[101:102]
	v_add_f64 v[91:92], v[95:96], v[65:66]
	v_add_f64 v[93:94], v[93:94], -v[101:102]
	v_add_f64 v[95:96], v[95:96], -v[65:66]
	ds_write_b128 v71, v[73:76]
	ds_write_b128 v71, v[77:80] offset:48
	ds_write_b128 v71, v[81:84] offset:16
	;; [unrolled: 1-line block ×5, first 2 shown]
	s_waitcnt lgkmcnt(0)
	s_barrier
	buffer_gl0_inv
	ds_read_b128 v[73:76], v68 offset:1728
	ds_read_b128 v[77:80], v68 offset:2880
	;; [unrolled: 1-line block ×5, first 2 shown]
	ds_read_b128 v[93:96], v68
	s_waitcnt lgkmcnt(0)
	s_barrier
	buffer_gl0_inv
	v_mul_f64 v[65:66], v[26:27], v[73:74]
	v_mul_f64 v[69:70], v[42:43], v[77:78]
	;; [unrolled: 1-line block ×6, first 2 shown]
	v_fma_f64 v[65:66], v[24:25], v[75:76], -v[65:66]
	v_fma_f64 v[69:70], v[40:41], v[79:80], -v[69:70]
	v_mul_f64 v[75:76], v[38:39], v[91:92]
	v_mul_f64 v[38:39], v[38:39], v[89:90]
	v_fma_f64 v[24:25], v[24:25], v[73:74], v[26:27]
	v_mul_f64 v[26:27], v[34:35], v[83:84]
	v_mul_f64 v[34:35], v[34:35], v[81:82]
	v_fma_f64 v[40:41], v[40:41], v[77:78], v[42:43]
	v_fma_f64 v[42:43], v[28:29], v[87:88], -v[97:98]
	v_fma_f64 v[28:29], v[28:29], v[85:86], v[30:31]
	v_add_f64 v[73:74], v[65:66], v[69:70]
	v_fma_f64 v[75:76], v[36:37], v[89:90], v[75:76]
	v_fma_f64 v[36:37], v[36:37], v[91:92], -v[38:39]
	v_add_f64 v[79:80], v[65:66], -v[69:70]
	v_fma_f64 v[26:27], v[32:33], v[81:82], v[26:27]
	v_fma_f64 v[32:33], v[32:33], v[83:84], -v[34:35]
	v_add_f64 v[30:31], v[24:25], v[40:41]
	v_add_f64 v[34:35], v[24:25], -v[40:41]
	v_add_f64 v[24:25], v[28:29], v[24:25]
	v_fma_f64 v[38:39], v[73:74], -0.5, v[42:43]
	v_add_f64 v[73:74], v[75:76], v[26:27]
	v_add_f64 v[77:78], v[36:37], v[32:33]
	v_fma_f64 v[30:31], v[30:31], -0.5, v[28:29]
	v_add_f64 v[28:29], v[93:94], v[75:76]
	v_add_f64 v[40:41], v[24:25], v[40:41]
	v_fma_f64 v[81:82], v[34:35], s[6:7], v[38:39]
	v_fma_f64 v[34:35], v[34:35], s[8:9], v[38:39]
	v_add_f64 v[38:39], v[42:43], v[65:66]
	v_add_f64 v[42:43], v[95:96], v[36:37]
	v_add_f64 v[36:37], v[36:37], -v[32:33]
	v_add_f64 v[65:66], v[75:76], -v[26:27]
	v_fma_f64 v[73:74], v[73:74], -0.5, v[93:94]
	v_fma_f64 v[75:76], v[77:78], -0.5, v[95:96]
	v_fma_f64 v[77:78], v[79:80], s[8:9], v[30:31]
	v_fma_f64 v[30:31], v[79:80], s[6:7], v[30:31]
	v_add_f64 v[28:29], v[28:29], v[26:27]
	v_mul_f64 v[79:80], v[81:82], s[8:9]
	v_mul_f64 v[81:82], v[81:82], 0.5
	v_mul_f64 v[83:84], v[34:35], s[8:9]
	v_mul_f64 v[34:35], v[34:35], -0.5
	v_add_f64 v[32:33], v[42:43], v[32:33]
	v_add_f64 v[38:39], v[38:39], v[69:70]
	v_fma_f64 v[42:43], v[36:37], s[8:9], v[73:74]
	v_fma_f64 v[69:70], v[36:37], s[6:7], v[73:74]
	;; [unrolled: 1-line block ×4, first 2 shown]
	v_add_f64 v[24:25], v[28:29], v[40:41]
	v_add_f64 v[28:29], v[28:29], -v[40:41]
	v_fma_f64 v[73:74], v[77:78], 0.5, v[79:80]
	v_fma_f64 v[77:78], v[77:78], s[6:7], v[81:82]
	v_fma_f64 v[75:76], v[30:31], -0.5, v[83:84]
	v_fma_f64 v[79:80], v[30:31], s[6:7], v[34:35]
	v_add_f64 v[26:27], v[32:33], v[38:39]
	v_add_f64 v[30:31], v[32:33], -v[38:39]
	v_add_f64 v[32:33], v[42:43], v[73:74]
	v_add_f64 v[34:35], v[85:86], v[77:78]
	;; [unrolled: 1-line block ×4, first 2 shown]
	v_add_f64 v[40:41], v[42:43], -v[73:74]
	v_add_f64 v[42:43], v[85:86], -v[77:78]
	;; [unrolled: 1-line block ×4, first 2 shown]
	ds_write_b128 v72, v[24:27]
	ds_write_b128 v72, v[28:31] offset:288
	ds_write_b128 v72, v[32:35] offset:96
	;; [unrolled: 1-line block ×5, first 2 shown]
	s_waitcnt lgkmcnt(0)
	s_barrier
	buffer_gl0_inv
	ds_read_b128 v[24:27], v68 offset:1728
	ds_read_b128 v[28:31], v68 offset:2880
	;; [unrolled: 1-line block ×5, first 2 shown]
	ds_read_b128 v[69:72], v68
	s_waitcnt lgkmcnt(5)
	v_mul_f64 v[65:66], v[50:51], v[24:25]
	s_waitcnt lgkmcnt(4)
	v_mul_f64 v[73:74], v[62:63], v[28:29]
	v_mul_f64 v[50:51], v[50:51], v[26:27]
	v_mul_f64 v[62:63], v[62:63], v[30:31]
	s_waitcnt lgkmcnt(1)
	v_mul_f64 v[75:76], v[58:59], v[40:41]
	v_mul_f64 v[58:59], v[58:59], v[42:43]
	v_fma_f64 v[26:27], v[48:49], v[26:27], -v[65:66]
	v_fma_f64 v[30:31], v[60:61], v[30:31], -v[73:74]
	v_mul_f64 v[65:66], v[46:47], v[34:35]
	v_mul_f64 v[46:47], v[46:47], v[32:33]
	;; [unrolled: 1-line block ×4, first 2 shown]
	v_fma_f64 v[24:25], v[48:49], v[24:25], v[50:51]
	v_fma_f64 v[28:29], v[60:61], v[28:29], v[62:63]
	v_fma_f64 v[42:43], v[56:57], v[42:43], -v[75:76]
	v_fma_f64 v[40:41], v[56:57], v[40:41], v[58:59]
	v_add_f64 v[48:49], v[26:27], v[30:31]
	v_fma_f64 v[32:33], v[44:45], v[32:33], v[65:66]
	v_fma_f64 v[34:35], v[44:45], v[34:35], -v[46:47]
	v_fma_f64 v[36:37], v[52:53], v[36:37], v[73:74]
	v_fma_f64 v[38:39], v[52:53], v[38:39], -v[54:55]
	v_add_f64 v[54:55], v[26:27], -v[30:31]
	v_add_f64 v[44:45], v[24:25], v[28:29]
	v_add_f64 v[46:47], v[24:25], -v[28:29]
	v_add_f64 v[24:25], v[40:41], v[24:25]
	v_add_f64 v[26:27], v[42:43], v[26:27]
	v_fma_f64 v[48:49], v[48:49], -0.5, v[42:43]
	v_add_f64 v[50:51], v[32:33], v[36:37]
	v_add_f64 v[52:53], v[34:35], v[38:39]
	v_add_f64 v[58:59], v[34:35], -v[38:39]
	v_fma_f64 v[44:45], v[44:45], -0.5, v[40:41]
	s_waitcnt lgkmcnt(0)
	v_add_f64 v[34:35], v[71:72], v[34:35]
	v_add_f64 v[28:29], v[24:25], v[28:29]
	;; [unrolled: 1-line block ×3, first 2 shown]
	v_fma_f64 v[56:57], v[46:47], s[6:7], v[48:49]
	v_fma_f64 v[46:47], v[46:47], s[8:9], v[48:49]
	v_add_f64 v[48:49], v[69:70], v[32:33]
	v_add_f64 v[32:33], v[32:33], -v[36:37]
	v_fma_f64 v[40:41], v[50:51], -0.5, v[69:70]
	v_fma_f64 v[42:43], v[52:53], -0.5, v[71:72]
	v_fma_f64 v[50:51], v[54:55], s[8:9], v[44:45]
	v_fma_f64 v[44:45], v[54:55], s[6:7], v[44:45]
	v_add_f64 v[34:35], v[34:35], v[38:39]
	v_mul_f64 v[52:53], v[56:57], s[8:9]
	v_mul_f64 v[56:57], v[56:57], 0.5
	v_mul_f64 v[54:55], v[46:47], s[8:9]
	v_mul_f64 v[46:47], v[46:47], -0.5
	v_add_f64 v[36:37], v[48:49], v[36:37]
	v_fma_f64 v[48:49], v[58:59], s[8:9], v[40:41]
	v_fma_f64 v[58:59], v[58:59], s[6:7], v[40:41]
	;; [unrolled: 1-line block ×4, first 2 shown]
	v_add_f64 v[26:27], v[34:35], v[30:31]
	v_add_f64 v[30:31], v[34:35], -v[30:31]
	v_fma_f64 v[40:41], v[50:51], 0.5, v[52:53]
	v_fma_f64 v[50:51], v[50:51], s[6:7], v[56:57]
	v_fma_f64 v[42:43], v[44:45], -0.5, v[54:55]
	v_fma_f64 v[46:47], v[44:45], s[6:7], v[46:47]
	v_add_f64 v[24:25], v[36:37], v[28:29]
	v_add_f64 v[28:29], v[36:37], -v[28:29]
	s_mul_hi_u32 s6, s0, 0x240
	v_add_f64 v[32:33], v[48:49], v[40:41]
	v_add_f64 v[34:35], v[60:61], v[50:51]
	;; [unrolled: 1-line block ×4, first 2 shown]
	v_add_f64 v[40:41], v[48:49], -v[40:41]
	v_add_f64 v[44:45], v[58:59], -v[42:43]
	;; [unrolled: 1-line block ×4, first 2 shown]
	v_mad_u64_u32 v[48:49], null, s2, v64, 0
	v_mad_u64_u32 v[50:51], null, s0, v67, 0
	ds_write_b128 v68, v[24:27]
	ds_write_b128 v68, v[28:31] offset:1728
	ds_write_b128 v68, v[32:35] offset:576
	;; [unrolled: 1-line block ×5, first 2 shown]
	s_waitcnt lgkmcnt(0)
	s_barrier
	buffer_gl0_inv
	ds_read_b128 v[24:27], v68
	ds_read_b128 v[28:31], v68 offset:576
	v_mov_b32_e32 v40, v49
	ds_read_b128 v[32:35], v68 offset:1152
	ds_read_b128 v[36:39], v68 offset:1728
	v_mov_b32_e32 v49, v51
	s_mulk_i32 s0, 0x240
	v_mad_u64_u32 v[51:52], null, s3, v64, v[40:41]
	ds_read_b128 v[40:43], v68 offset:2304
	ds_read_b128 v[44:47], v68 offset:2880
	v_mad_u64_u32 v[52:53], null, s1, v67, v[49:50]
	s_load_dwordx2 s[2:3], s[4:5], 0x38
	s_mov_b32 s4, 0xbda12f68
	s_mov_b32 s5, 0x3f72f684
	v_mov_b32_e32 v49, v51
	s_mulk_i32 s1, 0x240
	v_mov_b32_e32 v51, v52
	s_add_i32 s6, s6, s1
	s_waitcnt lgkmcnt(0)
	v_mul_f64 v[52:53], v[6:7], v[26:27]
	v_mul_f64 v[6:7], v[6:7], v[24:25]
	;; [unrolled: 1-line block ×12, first 2 shown]
	v_lshlrev_b64 v[48:49], 4, v[48:49]
	v_lshlrev_b64 v[50:51], 4, v[50:51]
	v_add_co_u32 v48, vcc_lo, s2, v48
	v_add_co_ci_u32_e32 v49, vcc_lo, s3, v49, vcc_lo
	v_fma_f64 v[24:25], v[4:5], v[24:25], v[52:53]
	v_fma_f64 v[4:5], v[4:5], v[26:27], -v[6:7]
	v_fma_f64 v[6:7], v[0:1], v[28:29], v[54:55]
	v_fma_f64 v[26:27], v[0:1], v[30:31], -v[2:3]
	;; [unrolled: 2-line block ×6, first 2 shown]
	v_add_co_u32 v36, vcc_lo, v48, v50
	v_add_co_ci_u32_e32 v37, vcc_lo, v49, v51, vcc_lo
	v_add_co_u32 v38, vcc_lo, v36, s0
	v_add_co_ci_u32_e32 v39, vcc_lo, s6, v37, vcc_lo
	v_mul_f64 v[0:1], v[24:25], s[4:5]
	v_mul_f64 v[2:3], v[4:5], s[4:5]
	;; [unrolled: 1-line block ×12, first 2 shown]
	v_add_co_u32 v24, vcc_lo, v38, s0
	v_add_co_ci_u32_e32 v25, vcc_lo, s6, v39, vcc_lo
	v_add_co_u32 v26, vcc_lo, v24, s0
	v_add_co_ci_u32_e32 v27, vcc_lo, s6, v25, vcc_lo
	;; [unrolled: 2-line block ×4, first 2 shown]
	global_store_dwordx4 v[36:37], v[0:3], off
	global_store_dwordx4 v[38:39], v[4:7], off
	;; [unrolled: 1-line block ×6, first 2 shown]
.LBB0_2:
	s_endpgm
	.section	.rodata,"a",@progbits
	.p2align	6, 0x0
	.amdhsa_kernel bluestein_single_back_len216_dim1_dp_op_CI_CI
		.amdhsa_group_segment_fixed_size 24192
		.amdhsa_private_segment_fixed_size 0
		.amdhsa_kernarg_size 104
		.amdhsa_user_sgpr_count 6
		.amdhsa_user_sgpr_private_segment_buffer 1
		.amdhsa_user_sgpr_dispatch_ptr 0
		.amdhsa_user_sgpr_queue_ptr 0
		.amdhsa_user_sgpr_kernarg_segment_ptr 1
		.amdhsa_user_sgpr_dispatch_id 0
		.amdhsa_user_sgpr_flat_scratch_init 0
		.amdhsa_user_sgpr_private_segment_size 0
		.amdhsa_wavefront_size32 1
		.amdhsa_uses_dynamic_stack 0
		.amdhsa_system_sgpr_private_segment_wavefront_offset 0
		.amdhsa_system_sgpr_workgroup_id_x 1
		.amdhsa_system_sgpr_workgroup_id_y 0
		.amdhsa_system_sgpr_workgroup_id_z 0
		.amdhsa_system_sgpr_workgroup_info 0
		.amdhsa_system_vgpr_workitem_id 0
		.amdhsa_next_free_vgpr 109
		.amdhsa_next_free_sgpr 20
		.amdhsa_reserve_vcc 1
		.amdhsa_reserve_flat_scratch 0
		.amdhsa_float_round_mode_32 0
		.amdhsa_float_round_mode_16_64 0
		.amdhsa_float_denorm_mode_32 3
		.amdhsa_float_denorm_mode_16_64 3
		.amdhsa_dx10_clamp 1
		.amdhsa_ieee_mode 1
		.amdhsa_fp16_overflow 0
		.amdhsa_workgroup_processor_mode 1
		.amdhsa_memory_ordered 1
		.amdhsa_forward_progress 0
		.amdhsa_shared_vgpr_count 0
		.amdhsa_exception_fp_ieee_invalid_op 0
		.amdhsa_exception_fp_denorm_src 0
		.amdhsa_exception_fp_ieee_div_zero 0
		.amdhsa_exception_fp_ieee_overflow 0
		.amdhsa_exception_fp_ieee_underflow 0
		.amdhsa_exception_fp_ieee_inexact 0
		.amdhsa_exception_int_div_zero 0
	.end_amdhsa_kernel
	.text
.Lfunc_end0:
	.size	bluestein_single_back_len216_dim1_dp_op_CI_CI, .Lfunc_end0-bluestein_single_back_len216_dim1_dp_op_CI_CI
                                        ; -- End function
	.section	.AMDGPU.csdata,"",@progbits
; Kernel info:
; codeLenInByte = 5756
; NumSgprs: 22
; NumVgprs: 109
; ScratchSize: 0
; MemoryBound: 0
; FloatMode: 240
; IeeeMode: 1
; LDSByteSize: 24192 bytes/workgroup (compile time only)
; SGPRBlocks: 2
; VGPRBlocks: 13
; NumSGPRsForWavesPerEU: 22
; NumVGPRsForWavesPerEU: 109
; Occupancy: 9
; WaveLimiterHint : 1
; COMPUTE_PGM_RSRC2:SCRATCH_EN: 0
; COMPUTE_PGM_RSRC2:USER_SGPR: 6
; COMPUTE_PGM_RSRC2:TRAP_HANDLER: 0
; COMPUTE_PGM_RSRC2:TGID_X_EN: 1
; COMPUTE_PGM_RSRC2:TGID_Y_EN: 0
; COMPUTE_PGM_RSRC2:TGID_Z_EN: 0
; COMPUTE_PGM_RSRC2:TIDIG_COMP_CNT: 0
	.text
	.p2alignl 6, 3214868480
	.fill 48, 4, 3214868480
	.type	__hip_cuid_fe53a24c26c82559,@object ; @__hip_cuid_fe53a24c26c82559
	.section	.bss,"aw",@nobits
	.globl	__hip_cuid_fe53a24c26c82559
__hip_cuid_fe53a24c26c82559:
	.byte	0                               ; 0x0
	.size	__hip_cuid_fe53a24c26c82559, 1

	.ident	"AMD clang version 19.0.0git (https://github.com/RadeonOpenCompute/llvm-project roc-6.4.0 25133 c7fe45cf4b819c5991fe208aaa96edf142730f1d)"
	.section	".note.GNU-stack","",@progbits
	.addrsig
	.addrsig_sym __hip_cuid_fe53a24c26c82559
	.amdgpu_metadata
---
amdhsa.kernels:
  - .args:
      - .actual_access:  read_only
        .address_space:  global
        .offset:         0
        .size:           8
        .value_kind:     global_buffer
      - .actual_access:  read_only
        .address_space:  global
        .offset:         8
        .size:           8
        .value_kind:     global_buffer
      - .actual_access:  read_only
        .address_space:  global
        .offset:         16
        .size:           8
        .value_kind:     global_buffer
      - .actual_access:  read_only
        .address_space:  global
        .offset:         24
        .size:           8
        .value_kind:     global_buffer
      - .actual_access:  read_only
        .address_space:  global
        .offset:         32
        .size:           8
        .value_kind:     global_buffer
      - .offset:         40
        .size:           8
        .value_kind:     by_value
      - .address_space:  global
        .offset:         48
        .size:           8
        .value_kind:     global_buffer
      - .address_space:  global
        .offset:         56
        .size:           8
        .value_kind:     global_buffer
      - .address_space:  global
        .offset:         64
        .size:           8
        .value_kind:     global_buffer
      - .address_space:  global
        .offset:         72
        .size:           8
        .value_kind:     global_buffer
      - .offset:         80
        .size:           4
        .value_kind:     by_value
      - .address_space:  global
        .offset:         88
        .size:           8
        .value_kind:     global_buffer
      - .address_space:  global
        .offset:         96
        .size:           8
        .value_kind:     global_buffer
    .group_segment_fixed_size: 24192
    .kernarg_segment_align: 8
    .kernarg_segment_size: 104
    .language:       OpenCL C
    .language_version:
      - 2
      - 0
    .max_flat_workgroup_size: 252
    .name:           bluestein_single_back_len216_dim1_dp_op_CI_CI
    .private_segment_fixed_size: 0
    .sgpr_count:     22
    .sgpr_spill_count: 0
    .symbol:         bluestein_single_back_len216_dim1_dp_op_CI_CI.kd
    .uniform_work_group_size: 1
    .uses_dynamic_stack: false
    .vgpr_count:     109
    .vgpr_spill_count: 0
    .wavefront_size: 32
    .workgroup_processor_mode: 1
amdhsa.target:   amdgcn-amd-amdhsa--gfx1030
amdhsa.version:
  - 1
  - 2
...

	.end_amdgpu_metadata
